;; amdgpu-corpus repo=ROCm/rocFFT kind=compiled arch=gfx1030 opt=O3
	.text
	.amdgcn_target "amdgcn-amd-amdhsa--gfx1030"
	.amdhsa_code_object_version 6
	.protected	fft_rtc_back_len52_factors_13_4_wgs_64_tpt_4_halfLds_dp_op_CI_CI_unitstride_sbrr_dirReg ; -- Begin function fft_rtc_back_len52_factors_13_4_wgs_64_tpt_4_halfLds_dp_op_CI_CI_unitstride_sbrr_dirReg
	.globl	fft_rtc_back_len52_factors_13_4_wgs_64_tpt_4_halfLds_dp_op_CI_CI_unitstride_sbrr_dirReg
	.p2align	8
	.type	fft_rtc_back_len52_factors_13_4_wgs_64_tpt_4_halfLds_dp_op_CI_CI_unitstride_sbrr_dirReg,@function
fft_rtc_back_len52_factors_13_4_wgs_64_tpt_4_halfLds_dp_op_CI_CI_unitstride_sbrr_dirReg: ; @fft_rtc_back_len52_factors_13_4_wgs_64_tpt_4_halfLds_dp_op_CI_CI_unitstride_sbrr_dirReg
; %bb.0:
	s_clause 0x2
	s_load_dwordx4 s[8:11], s[4:5], 0x0
	s_load_dwordx4 s[12:15], s[4:5], 0x58
	;; [unrolled: 1-line block ×3, first 2 shown]
	v_lshrrev_b32_e32 v38, 2, v0
	v_mov_b32_e32 v1, 0
	v_mov_b32_e32 v4, 0
	;; [unrolled: 1-line block ×3, first 2 shown]
	v_lshl_or_b32 v6, s6, 4, v38
	v_mov_b32_e32 v7, v1
	s_waitcnt lgkmcnt(0)
	v_cmp_lt_u64_e64 s0, s[10:11], 2
	s_and_b32 vcc_lo, exec_lo, s0
	s_cbranch_vccnz .LBB0_8
; %bb.1:
	s_load_dwordx2 s[0:1], s[4:5], 0x10
	v_mov_b32_e32 v4, 0
	v_mov_b32_e32 v5, 0
	s_add_u32 s2, s18, 8
	s_addc_u32 s3, s19, 0
	s_add_u32 s6, s16, 8
	s_addc_u32 s7, s17, 0
	v_mov_b32_e32 v78, v5
	v_mov_b32_e32 v77, v4
	s_mov_b64 s[22:23], 1
	s_waitcnt lgkmcnt(0)
	s_add_u32 s20, s0, 8
	s_addc_u32 s21, s1, 0
.LBB0_2:                                ; =>This Inner Loop Header: Depth=1
	s_load_dwordx2 s[24:25], s[20:21], 0x0
                                        ; implicit-def: $vgpr79_vgpr80
	s_mov_b32 s0, exec_lo
	s_waitcnt lgkmcnt(0)
	v_or_b32_e32 v2, s25, v7
	v_cmpx_ne_u64_e32 0, v[1:2]
	s_xor_b32 s1, exec_lo, s0
	s_cbranch_execz .LBB0_4
; %bb.3:                                ;   in Loop: Header=BB0_2 Depth=1
	v_cvt_f32_u32_e32 v2, s24
	v_cvt_f32_u32_e32 v3, s25
	s_sub_u32 s0, 0, s24
	s_subb_u32 s26, 0, s25
	v_fmac_f32_e32 v2, 0x4f800000, v3
	v_rcp_f32_e32 v2, v2
	v_mul_f32_e32 v2, 0x5f7ffffc, v2
	v_mul_f32_e32 v3, 0x2f800000, v2
	v_trunc_f32_e32 v3, v3
	v_fmac_f32_e32 v2, 0xcf800000, v3
	v_cvt_u32_f32_e32 v3, v3
	v_cvt_u32_f32_e32 v2, v2
	v_mul_lo_u32 v8, s0, v3
	v_mul_hi_u32 v9, s0, v2
	v_mul_lo_u32 v10, s26, v2
	v_add_nc_u32_e32 v8, v9, v8
	v_mul_lo_u32 v9, s0, v2
	v_add_nc_u32_e32 v8, v8, v10
	v_mul_hi_u32 v10, v2, v9
	v_mul_lo_u32 v11, v2, v8
	v_mul_hi_u32 v12, v2, v8
	v_mul_hi_u32 v13, v3, v9
	v_mul_lo_u32 v9, v3, v9
	v_mul_hi_u32 v14, v3, v8
	v_mul_lo_u32 v8, v3, v8
	v_add_co_u32 v10, vcc_lo, v10, v11
	v_add_co_ci_u32_e32 v11, vcc_lo, 0, v12, vcc_lo
	v_add_co_u32 v9, vcc_lo, v10, v9
	v_add_co_ci_u32_e32 v9, vcc_lo, v11, v13, vcc_lo
	v_add_co_ci_u32_e32 v10, vcc_lo, 0, v14, vcc_lo
	v_add_co_u32 v8, vcc_lo, v9, v8
	v_add_co_ci_u32_e32 v9, vcc_lo, 0, v10, vcc_lo
	v_add_co_u32 v2, vcc_lo, v2, v8
	v_add_co_ci_u32_e32 v3, vcc_lo, v3, v9, vcc_lo
	v_mul_hi_u32 v8, s0, v2
	v_mul_lo_u32 v10, s26, v2
	v_mul_lo_u32 v9, s0, v3
	v_add_nc_u32_e32 v8, v8, v9
	v_mul_lo_u32 v9, s0, v2
	v_add_nc_u32_e32 v8, v8, v10
	v_mul_hi_u32 v10, v2, v9
	v_mul_lo_u32 v11, v2, v8
	v_mul_hi_u32 v12, v2, v8
	v_mul_hi_u32 v13, v3, v9
	v_mul_lo_u32 v9, v3, v9
	v_mul_hi_u32 v14, v3, v8
	v_mul_lo_u32 v8, v3, v8
	v_add_co_u32 v10, vcc_lo, v10, v11
	v_add_co_ci_u32_e32 v11, vcc_lo, 0, v12, vcc_lo
	v_add_co_u32 v9, vcc_lo, v10, v9
	v_add_co_ci_u32_e32 v9, vcc_lo, v11, v13, vcc_lo
	v_add_co_ci_u32_e32 v10, vcc_lo, 0, v14, vcc_lo
	v_add_co_u32 v8, vcc_lo, v9, v8
	v_add_co_ci_u32_e32 v9, vcc_lo, 0, v10, vcc_lo
	v_add_co_u32 v8, vcc_lo, v2, v8
	v_add_co_ci_u32_e32 v10, vcc_lo, v3, v9, vcc_lo
	v_mul_hi_u32 v12, v6, v8
	v_mad_u64_u32 v[8:9], null, v7, v8, 0
	v_mad_u64_u32 v[2:3], null, v6, v10, 0
	;; [unrolled: 1-line block ×3, first 2 shown]
	v_add_co_u32 v2, vcc_lo, v12, v2
	v_add_co_ci_u32_e32 v3, vcc_lo, 0, v3, vcc_lo
	v_add_co_u32 v2, vcc_lo, v2, v8
	v_add_co_ci_u32_e32 v2, vcc_lo, v3, v9, vcc_lo
	v_add_co_ci_u32_e32 v3, vcc_lo, 0, v11, vcc_lo
	v_add_co_u32 v8, vcc_lo, v2, v10
	v_add_co_ci_u32_e32 v9, vcc_lo, 0, v3, vcc_lo
	v_mul_lo_u32 v10, s25, v8
	v_mad_u64_u32 v[2:3], null, s24, v8, 0
	v_mul_lo_u32 v11, s24, v9
	v_sub_co_u32 v2, vcc_lo, v6, v2
	v_add3_u32 v3, v3, v11, v10
	v_sub_nc_u32_e32 v10, v7, v3
	v_subrev_co_ci_u32_e64 v10, s0, s25, v10, vcc_lo
	v_add_co_u32 v11, s0, v8, 2
	v_add_co_ci_u32_e64 v12, s0, 0, v9, s0
	v_sub_co_u32 v13, s0, v2, s24
	v_sub_co_ci_u32_e32 v3, vcc_lo, v7, v3, vcc_lo
	v_subrev_co_ci_u32_e64 v10, s0, 0, v10, s0
	v_cmp_le_u32_e32 vcc_lo, s24, v13
	v_cmp_eq_u32_e64 s0, s25, v3
	v_cndmask_b32_e64 v13, 0, -1, vcc_lo
	v_cmp_le_u32_e32 vcc_lo, s25, v10
	v_cndmask_b32_e64 v14, 0, -1, vcc_lo
	v_cmp_le_u32_e32 vcc_lo, s24, v2
	;; [unrolled: 2-line block ×3, first 2 shown]
	v_cndmask_b32_e64 v15, 0, -1, vcc_lo
	v_cmp_eq_u32_e32 vcc_lo, s25, v10
	v_cndmask_b32_e64 v2, v15, v2, s0
	v_cndmask_b32_e32 v10, v14, v13, vcc_lo
	v_add_co_u32 v13, vcc_lo, v8, 1
	v_add_co_ci_u32_e32 v14, vcc_lo, 0, v9, vcc_lo
	v_cmp_ne_u32_e32 vcc_lo, 0, v10
	v_cndmask_b32_e32 v3, v14, v12, vcc_lo
	v_cndmask_b32_e32 v10, v13, v11, vcc_lo
	v_cmp_ne_u32_e32 vcc_lo, 0, v2
	v_cndmask_b32_e32 v80, v9, v3, vcc_lo
	v_cndmask_b32_e32 v79, v8, v10, vcc_lo
.LBB0_4:                                ;   in Loop: Header=BB0_2 Depth=1
	s_andn2_saveexec_b32 s0, s1
	s_cbranch_execz .LBB0_6
; %bb.5:                                ;   in Loop: Header=BB0_2 Depth=1
	v_cvt_f32_u32_e32 v2, s24
	s_sub_i32 s1, 0, s24
	v_mov_b32_e32 v80, v1
	v_rcp_iflag_f32_e32 v2, v2
	v_mul_f32_e32 v2, 0x4f7ffffe, v2
	v_cvt_u32_f32_e32 v2, v2
	v_mul_lo_u32 v3, s1, v2
	v_mul_hi_u32 v3, v2, v3
	v_add_nc_u32_e32 v2, v2, v3
	v_mul_hi_u32 v2, v6, v2
	v_mul_lo_u32 v3, v2, s24
	v_add_nc_u32_e32 v8, 1, v2
	v_sub_nc_u32_e32 v3, v6, v3
	v_subrev_nc_u32_e32 v9, s24, v3
	v_cmp_le_u32_e32 vcc_lo, s24, v3
	v_cndmask_b32_e32 v3, v3, v9, vcc_lo
	v_cndmask_b32_e32 v2, v2, v8, vcc_lo
	v_cmp_le_u32_e32 vcc_lo, s24, v3
	v_add_nc_u32_e32 v8, 1, v2
	v_cndmask_b32_e32 v79, v2, v8, vcc_lo
.LBB0_6:                                ;   in Loop: Header=BB0_2 Depth=1
	s_or_b32 exec_lo, exec_lo, s0
	v_mul_lo_u32 v8, v80, s24
	v_mul_lo_u32 v9, v79, s25
	s_load_dwordx2 s[0:1], s[6:7], 0x0
	v_mad_u64_u32 v[2:3], null, v79, s24, 0
	s_load_dwordx2 s[24:25], s[2:3], 0x0
	s_add_u32 s22, s22, 1
	s_addc_u32 s23, s23, 0
	s_add_u32 s2, s2, 8
	s_addc_u32 s3, s3, 0
	s_add_u32 s6, s6, 8
	v_add3_u32 v3, v3, v9, v8
	v_sub_co_u32 v2, vcc_lo, v6, v2
	s_addc_u32 s7, s7, 0
	s_add_u32 s20, s20, 8
	v_sub_co_ci_u32_e32 v3, vcc_lo, v7, v3, vcc_lo
	s_addc_u32 s21, s21, 0
	s_waitcnt lgkmcnt(0)
	v_mul_lo_u32 v6, s0, v3
	v_mul_lo_u32 v7, s1, v2
	v_mad_u64_u32 v[4:5], null, s0, v2, v[4:5]
	v_mul_lo_u32 v3, s24, v3
	v_mul_lo_u32 v8, s25, v2
	v_mad_u64_u32 v[77:78], null, s24, v2, v[77:78]
	v_cmp_ge_u64_e64 s0, s[22:23], s[10:11]
	v_add3_u32 v5, v7, v5, v6
	v_add3_u32 v78, v8, v78, v3
	s_and_b32 vcc_lo, exec_lo, s0
	s_cbranch_vccnz .LBB0_9
; %bb.7:                                ;   in Loop: Header=BB0_2 Depth=1
	v_mov_b32_e32 v6, v79
	v_mov_b32_e32 v7, v80
	s_branch .LBB0_2
.LBB0_8:
	v_mov_b32_e32 v78, v5
	v_mov_b32_e32 v80, v7
	;; [unrolled: 1-line block ×4, first 2 shown]
.LBB0_9:
	s_load_dwordx2 s[0:1], s[4:5], 0x28
	s_lshl_b64 s[2:3], s[10:11], 3
	v_and_b32_e32 v76, 3, v0
	s_add_u32 s4, s18, s2
	s_addc_u32 s5, s19, s3
                                        ; implicit-def: $vgpr89
                                        ; implicit-def: $vgpr90
	s_waitcnt lgkmcnt(0)
	v_cmp_gt_u64_e32 vcc_lo, s[0:1], v[79:80]
	v_cmp_le_u64_e64 s0, s[0:1], v[79:80]
	s_and_saveexec_b32 s1, s0
	s_xor_b32 s0, exec_lo, s1
; %bb.10:
	v_and_b32_e32 v76, 3, v0
                                        ; implicit-def: $vgpr4_vgpr5
	v_or_b32_e32 v89, 4, v76
	v_or_b32_e32 v90, 8, v76
; %bb.11:
	s_or_saveexec_b32 s1, s0
                                        ; implicit-def: $vgpr62_vgpr63
                                        ; implicit-def: $vgpr54_vgpr55
                                        ; implicit-def: $vgpr34_vgpr35
                                        ; implicit-def: $vgpr30_vgpr31
                                        ; implicit-def: $vgpr18_vgpr19
                                        ; implicit-def: $vgpr14_vgpr15
                                        ; implicit-def: $vgpr6_vgpr7
                                        ; implicit-def: $vgpr10_vgpr11
                                        ; implicit-def: $vgpr22_vgpr23
                                        ; implicit-def: $vgpr26_vgpr27
                                        ; implicit-def: $vgpr46_vgpr47
                                        ; implicit-def: $vgpr50_vgpr51
                                        ; implicit-def: $vgpr2_vgpr3
	s_xor_b32 exec_lo, exec_lo, s1
	s_cbranch_execz .LBB0_13
; %bb.12:
	s_add_u32 s2, s16, s2
	s_addc_u32 s3, s17, s3
	v_or_b32_e32 v89, 4, v76
	s_load_dwordx2 s[2:3], s[2:3], 0x0
	v_or_b32_e32 v90, 8, v76
	s_waitcnt lgkmcnt(0)
	v_mul_lo_u32 v2, s3, v79
	v_mul_lo_u32 v3, s2, v80
	v_mad_u64_u32 v[0:1], null, s2, v79, 0
	v_add3_u32 v1, v1, v3, v2
	v_lshlrev_b64 v[2:3], 4, v[4:5]
	v_lshlrev_b32_e32 v4, 4, v76
	v_lshlrev_b64 v[0:1], 4, v[0:1]
	v_add_co_u32 v0, s0, s12, v0
	v_add_co_ci_u32_e64 v1, s0, s13, v1, s0
	v_add_co_u32 v0, s0, v0, v2
	v_add_co_ci_u32_e64 v1, s0, v1, v3, s0
	;; [unrolled: 2-line block ×3, first 2 shown]
	s_clause 0xc
	global_load_dwordx4 v[0:3], v[4:5], off
	global_load_dwordx4 v[60:63], v[4:5], off offset:64
	global_load_dwordx4 v[52:55], v[4:5], off offset:128
	;; [unrolled: 1-line block ×12, first 2 shown]
.LBB0_13:
	s_or_b32 exec_lo, exec_lo, s1
	s_waitcnt vmcnt(11)
	v_add_f64 v[39:40], v[60:61], v[0:1]
	s_waitcnt vmcnt(0)
	v_add_f64 v[36:37], v[62:63], -v[6:7]
	s_mov_b32 s6, 0x42a4c3d2
	s_mov_b32 s34, 0x66966769
	;; [unrolled: 1-line block ×4, first 2 shown]
	v_add_f64 v[41:42], v[60:61], v[4:5]
	v_add_f64 v[56:57], v[54:55], -v[10:11]
	s_mov_b32 s2, 0x1ea71119
	s_mov_b32 s22, 0x2ef20147
	;; [unrolled: 1-line block ×8, first 2 shown]
	v_add_f64 v[58:59], v[52:53], v[8:9]
	v_add_f64 v[68:69], v[50:51], -v[14:15]
	s_mov_b32 s28, 0x24c2f84
	s_mov_b32 s12, 0xb2365da1
	;; [unrolled: 1-line block ×4, first 2 shown]
	v_add_f64 v[39:40], v[52:53], v[39:40]
	v_mul_f64 v[64:65], v[36:37], s[6:7]
	v_mul_f64 v[66:67], v[36:37], s[34:35]
	;; [unrolled: 1-line block ×3, first 2 shown]
	s_mov_b32 s13, 0xbfd6b1d8
	s_mov_b32 s21, 0xbfef11f4
	s_mov_b32 s39, 0x3fe5384d
	v_mul_f64 v[83:84], v[56:57], s[22:23]
	v_mul_f64 v[85:86], v[56:57], s[30:31]
	s_mov_b32 s38, s28
	v_mul_f64 v[109:110], v[36:37], s[28:29]
	v_add_f64 v[70:71], v[12:13], v[48:49]
	v_add_f64 v[72:73], v[46:47], -v[18:19]
	s_mov_b32 s44, 0x4267c47c
	v_mul_f64 v[115:116], v[56:57], s[38:39]
	v_mul_f64 v[125:126], v[36:37], s[30:31]
	s_mov_b32 s45, 0xbfddbe06
	v_mul_f64 v[101:102], v[68:69], s[30:31]
	v_mul_f64 v[36:37], v[36:37], s[44:45]
	s_mov_b32 s16, 0xd0032e0c
	s_mov_b32 s17, 0xbfe7f3cc
	;; [unrolled: 1-line block ×3, first 2 shown]
	v_add_f64 v[39:40], v[48:49], v[39:40]
	v_fma_f64 v[87:88], v[41:42], s[2:3], v[64:65]
	v_fma_f64 v[91:92], v[41:42], s[10:11], v[66:67]
	v_fma_f64 v[117:118], v[41:42], s[12:13], v[95:96]
	s_mov_b32 s24, s34
	s_mov_b32 s37, 0x3fddbe06
	;; [unrolled: 1-line block ×3, first 2 shown]
	v_fma_f64 v[111:112], v[58:59], s[12:13], v[83:84]
	v_fma_f64 v[113:114], v[58:59], s[20:21], v[85:86]
	v_mul_f64 v[129:130], v[56:57], s[24:25]
	v_fma_f64 v[149:150], v[41:42], s[16:17], v[109:110]
	v_add_f64 v[74:75], v[16:17], v[44:45]
	s_mov_b32 s18, 0xe00740e9
	v_mul_f64 v[105:106], v[72:73], s[38:39]
	v_mul_f64 v[141:142], v[56:57], s[36:37]
	v_fma_f64 v[151:152], v[41:42], s[20:21], v[125:126]
	v_fma_f64 v[125:126], v[41:42], s[20:21], -v[125:126]
	v_fma_f64 v[145:146], v[70:71], s[20:21], v[101:102]
	s_mov_b32 s19, 0x3fec55a7
	v_fma_f64 v[95:96], v[41:42], s[12:13], -v[95:96]
	v_fma_f64 v[109:110], v[41:42], s[16:17], -v[109:110]
	;; [unrolled: 1-line block ×3, first 2 shown]
	v_add_f64 v[39:40], v[44:45], v[39:40]
	v_add_f64 v[87:88], v[87:88], v[0:1]
	;; [unrolled: 1-line block ×3, first 2 shown]
	v_fma_f64 v[66:67], v[41:42], s[10:11], -v[66:67]
	v_mul_f64 v[56:57], v[56:57], s[6:7]
	v_fma_f64 v[165:166], v[41:42], s[18:19], v[36:37]
	v_fma_f64 v[36:37], v[41:42], s[18:19], -v[36:37]
	s_mov_b32 s41, 0x3fedeba7
	s_mov_b32 s40, s22
	v_mul_f64 v[131:132], v[68:69], s[36:37]
	v_mul_f64 v[103:104], v[68:69], s[40:41]
	;; [unrolled: 1-line block ×3, first 2 shown]
	v_fma_f64 v[161:162], v[58:59], s[10:11], v[129:130]
	v_add_f64 v[149:150], v[149:150], v[0:1]
	v_mul_f64 v[143:144], v[68:69], s[28:29]
	v_fma_f64 v[153:154], v[74:75], s[16:17], v[105:106]
	v_add_f64 v[41:42], v[151:152], v[0:1]
	v_add_f64 v[125:126], v[125:126], v[0:1]
	v_fma_f64 v[129:130], v[58:59], s[10:11], -v[129:130]
	v_add_f64 v[95:96], v[95:96], v[0:1]
	v_add_f64 v[109:110], v[109:110], v[0:1]
	v_fma_f64 v[83:84], v[58:59], s[12:13], -v[83:84]
	v_add_f64 v[39:40], v[32:33], v[39:40]
	v_add_f64 v[87:88], v[111:112], v[87:88]
	;; [unrolled: 1-line block ×3, first 2 shown]
	v_fma_f64 v[111:112], v[58:59], s[16:17], v[115:116]
	v_add_f64 v[113:114], v[117:118], v[0:1]
	v_fma_f64 v[115:116], v[58:59], s[16:17], -v[115:116]
	v_fma_f64 v[85:86], v[58:59], s[20:21], -v[85:86]
	v_add_f64 v[64:65], v[64:65], v[0:1]
	v_add_f64 v[66:67], v[66:67], v[0:1]
	v_mul_f64 v[68:69], v[68:69], s[34:35]
	v_fma_f64 v[151:152], v[58:59], s[2:3], v[56:57]
	v_add_f64 v[165:166], v[165:166], v[0:1]
	v_fma_f64 v[56:57], v[58:59], s[2:3], -v[56:57]
	v_add_f64 v[0:1], v[36:37], v[0:1]
	s_mov_b32 s43, 0x3fcea1e5
	s_mov_b32 s42, s30
	v_add_f64 v[81:82], v[34:35], -v[22:23]
	s_mov_b32 s27, 0x3fea55e2
	s_mov_b32 s26, s6
	v_mul_f64 v[107:108], v[72:73], s[36:37]
	v_fma_f64 v[147:148], v[70:71], s[12:13], v[103:104]
	v_mul_f64 v[135:136], v[72:73], s[34:35]
	v_add_f64 v[39:40], v[28:29], v[39:40]
	v_add_f64 v[87:88], v[145:146], v[87:88]
	v_mul_f64 v[137:138], v[72:73], s[42:43]
	v_fma_f64 v[163:164], v[70:71], s[18:19], v[131:132]
	v_add_f64 v[111:112], v[111:112], v[113:114]
	v_fma_f64 v[113:114], v[58:59], s[18:19], v[141:142]
	v_fma_f64 v[141:142], v[58:59], s[18:19], -v[141:142]
	v_fma_f64 v[145:146], v[70:71], s[2:3], v[133:134]
	v_add_f64 v[149:150], v[161:162], v[149:150]
	v_mul_f64 v[117:118], v[72:73], s[26:27]
	v_add_f64 v[95:96], v[115:116], v[95:96]
	v_add_f64 v[109:110], v[129:130], v[109:110]
	v_fma_f64 v[101:102], v[70:71], s[20:21], -v[101:102]
	v_fma_f64 v[103:104], v[70:71], s[12:13], -v[103:104]
	v_add_f64 v[64:65], v[83:84], v[64:65]
	v_add_f64 v[66:67], v[85:86], v[66:67]
	v_fma_f64 v[83:84], v[70:71], s[10:11], v[68:69]
	v_add_f64 v[85:86], v[151:152], v[165:166]
	v_mul_f64 v[72:73], v[72:73], s[22:23]
	v_fma_f64 v[68:69], v[70:71], s[10:11], -v[68:69]
	v_add_f64 v[0:1], v[56:57], v[0:1]
	v_add_f64 v[93:94], v[32:33], v[20:21]
	v_add_f64 v[36:37], v[24:25], v[39:40]
	v_add_f64 v[87:88], v[153:154], v[87:88]
	v_fma_f64 v[153:154], v[70:71], s[16:17], v[143:144]
	v_fma_f64 v[143:144], v[70:71], s[16:17], -v[143:144]
	v_add_f64 v[97:98], v[30:31], -v[26:27]
	v_add_f64 v[39:40], v[113:114], v[41:42]
	v_add_f64 v[41:42], v[141:142], v[125:126]
	v_fma_f64 v[113:114], v[70:71], s[18:19], -v[131:132]
	v_fma_f64 v[125:126], v[70:71], s[2:3], -v[133:134]
	v_mul_f64 v[119:120], v[81:82], s[24:25]
	v_mul_f64 v[121:122], v[81:82], s[6:7]
	v_fma_f64 v[155:156], v[74:75], s[18:19], v[107:108]
	v_add_f64 v[91:92], v[147:148], v[91:92]
	v_mul_f64 v[139:140], v[81:82], s[42:43]
	v_fma_f64 v[147:148], v[74:75], s[10:11], v[135:136]
	v_add_f64 v[111:112], v[163:164], v[111:112]
	v_fma_f64 v[58:59], v[74:75], s[20:21], v[137:138]
	v_add_f64 v[115:116], v[145:146], v[149:150]
	v_mul_f64 v[129:130], v[81:82], s[36:37]
	v_fma_f64 v[56:57], v[74:75], s[2:3], v[117:118]
	v_fma_f64 v[70:71], v[74:75], s[2:3], -v[117:118]
	v_mul_f64 v[117:118], v[81:82], s[22:23]
	v_add_f64 v[36:37], v[20:21], v[36:37]
	v_add_f64 v[64:65], v[101:102], v[64:65]
	;; [unrolled: 1-line block ×3, first 2 shown]
	v_fma_f64 v[101:102], v[74:75], s[16:17], -v[105:106]
	v_fma_f64 v[103:104], v[74:75], s[18:19], -v[107:108]
	v_add_f64 v[39:40], v[153:154], v[39:40]
	v_add_f64 v[41:42], v[143:144], v[41:42]
	;; [unrolled: 1-line block ×4, first 2 shown]
	v_fma_f64 v[113:114], v[74:75], s[10:11], -v[135:136]
	v_fma_f64 v[125:126], v[74:75], s[20:21], -v[137:138]
	v_add_f64 v[83:84], v[83:84], v[85:86]
	v_fma_f64 v[85:86], v[74:75], s[12:13], v[72:73]
	v_mul_f64 v[81:82], v[81:82], s[28:29]
	v_fma_f64 v[72:73], v[74:75], s[12:13], -v[72:73]
	v_add_f64 v[0:1], v[68:69], v[0:1]
	v_add_f64 v[99:100], v[28:29], v[24:25]
	v_mul_f64 v[123:124], v[97:98], s[36:37]
	v_mul_f64 v[127:128], v[97:98], s[28:29]
	v_fma_f64 v[157:158], v[93:94], s[10:11], v[119:120]
	v_fma_f64 v[159:160], v[93:94], s[2:3], v[121:122]
	v_add_f64 v[91:92], v[155:156], v[91:92]
	v_add_f64 v[36:37], v[16:17], v[36:37]
	;; [unrolled: 1-line block ×4, first 2 shown]
	v_fma_f64 v[105:106], v[93:94], s[20:21], v[139:140]
	v_fma_f64 v[107:108], v[93:94], s[18:19], v[129:130]
	v_mul_f64 v[68:69], v[97:98], s[26:27]
	v_mul_f64 v[74:75], v[97:98], s[22:23]
	v_add_f64 v[39:40], v[56:57], v[39:40]
	v_add_f64 v[41:42], v[70:71], v[41:42]
	v_fma_f64 v[56:57], v[93:94], s[12:13], v[117:118]
	v_fma_f64 v[70:71], v[93:94], s[12:13], -v[117:118]
	v_mul_f64 v[115:116], v[97:98], s[24:25]
	v_add_f64 v[95:96], v[113:114], v[95:96]
	v_add_f64 v[109:110], v[125:126], v[109:110]
	v_fma_f64 v[113:114], v[93:94], s[20:21], -v[139:140]
	v_fma_f64 v[117:118], v[93:94], s[18:19], -v[129:130]
	v_add_f64 v[64:65], v[101:102], v[64:65]
	v_add_f64 v[66:67], v[103:104], v[66:67]
	v_fma_f64 v[101:102], v[93:94], s[10:11], -v[119:120]
	v_fma_f64 v[103:104], v[93:94], s[2:3], -v[121:122]
	v_add_f64 v[83:84], v[85:86], v[83:84]
	v_fma_f64 v[85:86], v[93:94], s[16:17], v[81:82]
	v_mul_f64 v[97:98], v[97:98], s[30:31]
	v_fma_f64 v[81:82], v[93:94], s[16:17], -v[81:82]
	v_add_f64 v[0:1], v[72:73], v[0:1]
	v_add_f64 v[36:37], v[12:13], v[36:37]
	;; [unrolled: 1-line block ×4, first 2 shown]
	v_fma_f64 v[119:120], v[99:100], s[18:19], v[123:124]
	v_fma_f64 v[72:73], v[99:100], s[16:17], v[127:128]
	v_add_f64 v[93:94], v[105:106], v[111:112]
	v_add_f64 v[58:59], v[107:108], v[58:59]
	v_fma_f64 v[105:106], v[99:100], s[2:3], v[68:69]
	v_fma_f64 v[107:108], v[99:100], s[12:13], v[74:75]
	v_add_f64 v[39:40], v[56:57], v[39:40]
	v_add_f64 v[41:42], v[70:71], v[41:42]
	v_fma_f64 v[56:57], v[99:100], s[10:11], v[115:116]
	v_fma_f64 v[70:71], v[99:100], s[10:11], -v[115:116]
	v_add_f64 v[95:96], v[113:114], v[95:96]
	v_add_f64 v[109:110], v[117:118], v[109:110]
	v_fma_f64 v[68:69], v[99:100], s[2:3], -v[68:69]
	v_fma_f64 v[74:75], v[99:100], s[12:13], -v[74:75]
	v_add_f64 v[64:65], v[101:102], v[64:65]
	v_add_f64 v[66:67], v[103:104], v[66:67]
	v_fma_f64 v[101:102], v[99:100], s[18:19], -v[123:124]
	v_fma_f64 v[103:104], v[99:100], s[16:17], -v[127:128]
	v_add_f64 v[83:84], v[85:86], v[83:84]
	v_fma_f64 v[85:86], v[99:100], s[20:21], v[97:98]
	v_fma_f64 v[97:98], v[99:100], s[20:21], -v[97:98]
	v_add_f64 v[0:1], v[81:82], v[0:1]
	v_add_f64 v[81:82], v[8:9], v[36:37]
	;; [unrolled: 1-line block ×4, first 2 shown]
	v_mul_u32_u24_e32 v111, 52, v38
	v_add_f64 v[99:100], v[105:106], v[93:94]
	v_add_f64 v[58:59], v[107:108], v[58:59]
	s_load_dwordx2 s[4:5], s[4:5], 0x0
	v_cmp_eq_u32_e64 s0, 0, v76
	v_add_f64 v[38:39], v[56:57], v[39:40]
	v_add_f64 v[40:41], v[70:71], v[41:42]
	v_lshl_add_u32 v91, v111, 3, 0
	v_add_f64 v[42:43], v[68:69], v[95:96]
	v_add_f64 v[56:57], v[74:75], v[109:110]
	v_mad_u32_u24 v92, 0x68, v76, v91
	v_add_f64 v[64:65], v[101:102], v[64:65]
	v_add_f64 v[66:67], v[103:104], v[66:67]
	v_lshl_add_u32 v96, v76, 3, v91
	v_add_f64 v[68:69], v[85:86], v[83:84]
	v_lshl_add_u32 v95, v90, 3, v91
	v_add_f64 v[36:37], v[97:98], v[0:1]
	v_add_f64 v[0:1], v[4:5], v[81:82]
	v_lshl_add_u32 v94, v89, 3, v91
	v_mad_i32_i24 v93, 0xffffffa0, v76, v92
	ds_write2_b64 v92, v[87:88], v[72:73] offset0:2 offset1:3
	ds_write2_b64 v92, v[99:100], v[58:59] offset0:4 offset1:5
	;; [unrolled: 1-line block ×5, first 2 shown]
	ds_write_b64 v92, v[36:37] offset:96
	ds_write2_b64 v92, v[0:1], v[68:69] offset1:1
	s_waitcnt lgkmcnt(0)
	s_barrier
	buffer_gl0_inv
	ds_read_b64 v[85:86], v96
	ds_read_b64 v[83:84], v95
	;; [unrolled: 1-line block ×3, first 2 shown]
	ds_read_b64 v[87:88], v93 offset:376
	ds_read2_b64 v[68:71], v93 offset0:13 offset1:17
	ds_read2_b64 v[64:67], v93 offset0:21 offset1:26
	;; [unrolled: 1-line block ×4, first 2 shown]
                                        ; implicit-def: $vgpr40_vgpr41
	s_and_saveexec_b32 s1, s0
	s_cbranch_execz .LBB0_15
; %bb.14:
	ds_read2_b64 v[36:39], v91 offset0:12 offset1:25
	ds_read2_b64 v[40:43], v91 offset0:38 offset1:51
.LBB0_15:
	s_or_b32 exec_lo, exec_lo, s1
	v_add_f64 v[0:1], v[62:63], v[2:3]
	v_add_f64 v[4:5], v[60:61], -v[4:5]
	v_add_f64 v[8:9], v[52:53], -v[8:9]
	v_add_f64 v[52:53], v[62:63], v[6:7]
	v_add_f64 v[12:13], v[48:49], -v[12:13]
	v_add_f64 v[48:49], v[54:55], v[10:11]
	v_add_f64 v[24:25], v[28:29], -v[24:25]
	v_add_f64 v[16:17], v[44:45], -v[16:17]
	v_add_f64 v[44:45], v[34:35], v[22:23]
	v_add_f64 v[20:21], v[32:33], -v[20:21]
	v_add_f64 v[32:33], v[30:31], v[26:27]
	v_add_f64 v[60:61], v[18:19], v[46:47]
	s_waitcnt lgkmcnt(0)
	s_barrier
	buffer_gl0_inv
	v_add_f64 v[0:1], v[54:55], v[0:1]
	v_add_f64 v[54:55], v[14:15], v[50:51]
	v_mul_f64 v[28:29], v[4:5], s[44:45]
	v_mul_f64 v[62:63], v[4:5], s[34:35]
	;; [unrolled: 1-line block ×20, first 2 shown]
	v_add_f64 v[0:1], v[50:51], v[0:1]
	v_mul_f64 v[50:51], v[4:5], s[6:7]
	v_mul_f64 v[4:5], v[4:5], s[30:31]
	v_fma_f64 v[149:150], v[52:53], s[18:19], -v[28:29]
	v_fma_f64 v[153:154], v[52:53], s[10:11], -v[62:63]
	;; [unrolled: 1-line block ×3, first 2 shown]
	v_fma_f64 v[99:100], v[52:53], s[16:17], v[99:100]
	v_fma_f64 v[62:63], v[52:53], s[10:11], v[62:63]
	;; [unrolled: 1-line block ×3, first 2 shown]
	v_fma_f64 v[159:160], v[48:49], s[12:13], -v[103:104]
	v_fma_f64 v[103:104], v[48:49], s[12:13], v[103:104]
	v_fma_f64 v[161:162], v[48:49], s[20:21], -v[105:106]
	v_fma_f64 v[105:106], v[48:49], s[20:21], v[105:106]
	v_fma_f64 v[163:164], v[48:49], s[16:17], -v[107:108]
	v_fma_f64 v[107:108], v[48:49], s[16:17], v[107:108]
	v_fma_f64 v[165:166], v[48:49], s[10:11], -v[109:110]
	v_fma_f64 v[109:110], v[48:49], s[10:11], v[109:110]
	v_fma_f64 v[167:168], v[48:49], s[18:19], -v[8:9]
	v_fma_f64 v[8:9], v[48:49], s[18:19], v[8:9]
	v_fma_f64 v[169:170], v[54:55], s[20:21], -v[113:114]
	v_fma_f64 v[171:172], v[54:55], s[18:19], -v[117:118]
	v_fma_f64 v[117:118], v[54:55], s[18:19], v[117:118]
	v_add_f64 v[0:1], v[46:47], v[0:1]
	v_fma_f64 v[151:152], v[52:53], s[2:3], -v[50:51]
	v_fma_f64 v[50:51], v[52:53], s[2:3], v[50:51]
	v_fma_f64 v[157:158], v[52:53], s[20:21], -v[4:5]
	v_fma_f64 v[4:5], v[52:53], s[20:21], v[4:5]
	;; [unrolled: 2-line block ×4, first 2 shown]
	v_add_f64 v[99:100], v[99:100], v[2:3]
	v_add_f64 v[62:63], v[62:63], v[2:3]
	v_mul_f64 v[46:47], v[16:17], s[34:35]
	v_mul_f64 v[16:17], v[16:17], s[26:27]
	;; [unrolled: 1-line block ×7, first 2 shown]
	v_fma_f64 v[179:180], v[60:61], s[20:21], -v[127:128]
	v_mul_f64 v[20:21], v[20:21], s[22:23]
	v_mul_f64 v[139:140], v[24:25], s[30:31]
	;; [unrolled: 1-line block ×3, first 2 shown]
	v_add_f64 v[0:1], v[34:35], v[0:1]
	v_fma_f64 v[34:35], v[52:53], s[12:13], -v[97:98]
	v_fma_f64 v[97:98], v[52:53], s[12:13], v[97:98]
	v_fma_f64 v[52:53], v[48:49], s[2:3], -v[101:102]
	v_fma_f64 v[101:102], v[48:49], s[2:3], v[101:102]
	;; [unrolled: 2-line block ×3, first 2 shown]
	v_add_f64 v[50:51], v[50:51], v[2:3]
	v_add_f64 v[4:5], v[4:5], v[2:3]
	v_mul_f64 v[143:144], v[24:25], s[28:29]
	v_add_f64 v[62:63], v[105:106], v[62:63]
	v_fma_f64 v[177:178], v[60:61], s[10:11], -v[46:47]
	v_fma_f64 v[46:47], v[60:61], s[10:11], v[46:47]
	v_mul_f64 v[145:146], v[24:25], s[26:27]
	v_mul_f64 v[147:148], v[24:25], s[22:23]
	;; [unrolled: 1-line block ×3, first 2 shown]
	v_fma_f64 v[105:106], v[44:45], s[10:11], -v[131:132]
	v_add_f64 v[0:1], v[30:31], v[0:1]
	v_fma_f64 v[30:31], v[54:55], s[20:21], v[113:114]
	v_fma_f64 v[113:114], v[54:55], s[12:13], -v[115:116]
	v_fma_f64 v[115:116], v[54:55], s[12:13], v[115:116]
	v_add_f64 v[54:55], v[149:150], v[2:3]
	v_add_f64 v[149:150], v[151:152], v[2:3]
	;; [unrolled: 1-line block ×11, first 2 shown]
	v_fma_f64 v[28:29], v[60:61], s[12:13], v[121:122]
	v_fma_f64 v[157:158], v[60:61], s[18:19], -v[125:126]
	v_fma_f64 v[99:100], v[60:61], s[2:3], -v[16:17]
	v_fma_f64 v[16:17], v[60:61], s[2:3], v[16:17]
	v_fma_f64 v[125:126], v[60:61], s[18:19], v[125:126]
	;; [unrolled: 1-line block ×3, first 2 shown]
	v_add_f64 v[0:1], v[26:27], v[0:1]
	v_fma_f64 v[26:27], v[60:61], s[12:13], -v[121:122]
	v_fma_f64 v[121:122], v[60:61], s[16:17], -v[123:124]
	v_fma_f64 v[123:124], v[60:61], s[16:17], v[123:124]
	v_add_f64 v[52:53], v[52:53], v[54:55]
	v_add_f64 v[54:55], v[159:160], v[149:150]
	;; [unrolled: 1-line block ×12, first 2 shown]
	v_fma_f64 v[62:63], v[44:45], s[20:21], v[135:136]
	v_fma_f64 v[101:102], v[44:45], s[16:17], v[129:130]
	;; [unrolled: 1-line block ×3, first 2 shown]
	v_fma_f64 v[119:120], v[32:33], s[10:11], -v[24:25]
	v_fma_f64 v[24:25], v[32:33], s[10:11], v[24:25]
	v_add_f64 v[0:1], v[22:23], v[0:1]
	v_fma_f64 v[22:23], v[60:61], s[20:21], v[127:128]
	v_fma_f64 v[60:61], v[44:45], s[16:17], -v[129:130]
	v_fma_f64 v[127:128], v[44:45], s[2:3], -v[133:134]
	v_add_f64 v[48:49], v[48:49], v[52:53]
	v_add_f64 v[52:53], v[169:170], v[54:55]
	;; [unrolled: 1-line block ×8, first 2 shown]
	v_fma_f64 v[107:108], v[44:45], s[18:19], -v[137:138]
	v_add_f64 v[30:31], v[123:124], v[30:31]
	v_fma_f64 v[113:114], v[44:45], s[12:13], -v[20:21]
	v_fma_f64 v[20:21], v[44:45], s[12:13], v[20:21]
	v_add_f64 v[4:5], v[16:17], v[4:5]
	v_fma_f64 v[111:112], v[44:45], s[18:19], v[137:138]
	v_fma_f64 v[129:130], v[44:45], s[2:3], v[133:134]
	v_add_f64 v[12:13], v[125:126], v[12:13]
	v_fma_f64 v[117:118], v[32:33], s[18:19], -v[141:142]
	v_fma_f64 v[16:17], v[32:33], s[16:17], -v[143:144]
	v_add_f64 v[0:1], v[18:19], v[0:1]
	v_fma_f64 v[18:19], v[44:45], s[20:21], -v[135:136]
	v_add_f64 v[8:9], v[22:23], v[8:9]
	v_fma_f64 v[44:45], v[32:33], s[20:21], -v[139:140]
	v_add_f64 v[26:27], v[26:27], v[48:49]
	v_add_f64 v[48:49], v[121:122], v[52:53]
	v_add_f64 v[50:51], v[157:158], v[50:51]
	;; [unrolled: 1-line block ×7, first 2 shown]
	v_fma_f64 v[22:23], v[32:33], s[16:17], v[143:144]
	v_fma_f64 v[28:29], v[32:33], s[2:3], -v[145:146]
	v_fma_f64 v[97:98], v[32:33], s[2:3], v[145:146]
	v_fma_f64 v[99:100], v[32:33], s[12:13], -v[147:148]
	v_fma_f64 v[103:104], v[32:33], s[12:13], v[147:148]
	v_add_f64 v[30:31], v[109:110], v[30:31]
	v_add_f64 v[4:5], v[20:21], v[4:5]
	;; [unrolled: 1-line block ×4, first 2 shown]
	v_fma_f64 v[14:15], v[32:33], s[18:19], v[141:142]
	v_add_f64 v[8:9], v[111:112], v[8:9]
	v_add_f64 v[26:27], v[60:61], v[26:27]
	;; [unrolled: 1-line block ×23, first 2 shown]
	ds_write2_b64 v92, v[26:27], v[16:17] offset0:2 offset1:3
	ds_write2_b64 v92, v[18:19], v[30:31] offset0:4 offset1:5
	;; [unrolled: 1-line block ×5, first 2 shown]
	ds_write_b64 v92, v[0:1] offset:96
	ds_write2_b64 v92, v[2:3], v[20:21] offset1:1
	s_waitcnt lgkmcnt(0)
	s_barrier
	buffer_gl0_inv
	ds_read_b64 v[28:29], v96
	ds_read2_b64 v[8:11], v93 offset0:13 offset1:17
	ds_read2_b64 v[16:19], v93 offset0:21 offset1:26
	;; [unrolled: 1-line block ×4, first 2 shown]
	ds_read_b64 v[30:31], v95
	ds_read_b64 v[26:27], v94
	ds_read_b64 v[32:33], v93 offset:376
                                        ; implicit-def: $vgpr4_vgpr5
	s_and_saveexec_b32 s1, s0
	s_cbranch_execz .LBB0_17
; %bb.16:
	ds_read2_b64 v[0:3], v91 offset0:12 offset1:25
	ds_read2_b64 v[4:7], v91 offset0:38 offset1:51
.LBB0_17:
	s_or_b32 exec_lo, exec_lo, s1
	s_and_saveexec_b32 s1, vcc_lo
	s_cbranch_execz .LBB0_20
; %bb.18:
	v_mul_i32_i24_e32 v24, 3, v90
	v_mov_b32_e32 v25, 0
	v_mul_u32_u24_e32 v35, 3, v76
	v_add_nc_u32_e32 v109, 4, v76
	v_add_nc_u32_e32 v125, 8, v76
	v_mul_hi_u32 v111, 0x4ec4ec4f, v76
	v_lshlrev_b64 v[44:45], 4, v[24:25]
	v_mul_i32_i24_e32 v24, 3, v89
	v_lshlrev_b32_e32 v34, 4, v35
	v_mul_hi_u32 v110, 0x4ec4ec4f, v109
	v_mul_hi_u32 v112, 0x4ec4ec4f, v125
	v_lshlrev_b64 v[77:78], 4, v[77:78]
	v_lshlrev_b64 v[95:96], 4, v[24:25]
	v_add_co_u32 v93, vcc_lo, s8, v44
	v_add_co_ci_u32_e32 v94, vcc_lo, s9, v45, vcc_lo
	s_clause 0x4
	global_load_dwordx4 v[44:47], v34, s[8:9] offset:32
	global_load_dwordx4 v[48:51], v34, s[8:9] offset:16
	global_load_dwordx4 v[52:55], v34, s[8:9]
	global_load_dwordx4 v[60:63], v[93:94], off offset:16
	global_load_dwordx4 v[89:92], v[93:94], off
	v_add_co_u32 v105, vcc_lo, s8, v95
	v_add_co_ci_u32_e32 v106, vcc_lo, s9, v96, vcc_lo
	s_clause 0x3
	global_load_dwordx4 v[93:96], v[93:94], off offset:32
	global_load_dwordx4 v[97:100], v[105:106], off offset:16
	global_load_dwordx4 v[101:104], v[105:106], off
	global_load_dwordx4 v[105:108], v[105:106], off offset:32
	v_mul_lo_u32 v24, s5, v79
	v_mul_lo_u32 v34, s4, v80
	v_mad_u64_u32 v[79:80], null, s4, v79, 0
	v_lshrrev_b32_e32 v126, 2, v110
	v_lshrrev_b32_e32 v128, 2, v112
	v_mul_lo_u32 v110, v126, 13
	v_add3_u32 v80, v80, v34, v24
	v_lshrrev_b32_e32 v24, 2, v111
	v_mul_lo_u32 v129, v128, 13
	v_add_nc_u32_e32 v34, 12, v76
	v_lshlrev_b64 v[79:80], 4, v[79:80]
	v_mul_lo_u32 v127, v24, 13
	v_sub_nc_u32_e32 v24, v109, v110
	v_cmp_gt_u32_e32 vcc_lo, 13, v34
	v_sub_nc_u32_e32 v125, v125, v129
	v_add_co_u32 v130, s1, s14, v79
	v_add_co_ci_u32_e64 v131, s1, s15, v80, s1
	v_sub_nc_u32_e32 v132, v76, v127
	v_mad_u64_u32 v[126:127], null, v126, 52, v[24:25]
	v_mov_b32_e32 v127, v25
	v_add_nc_u32_e32 v24, 13, v126
	s_waitcnt vmcnt(8)
	v_mul_f64 v[111:112], v[72:73], v[44:45]
	s_waitcnt vmcnt(7)
	v_mul_f64 v[79:80], v[66:67], v[50:51]
	;; [unrolled: 2-line block ×3, first 2 shown]
	s_waitcnt lgkmcnt(5)
	v_mul_f64 v[50:51], v[18:19], v[50:51]
	v_mul_f64 v[68:69], v[68:69], v[54:55]
	v_mul_f64 v[72:73], v[72:73], v[46:47]
	s_waitcnt vmcnt(5)
	v_mul_f64 v[113:114], v[58:59], v[62:63]
	s_waitcnt vmcnt(4)
	v_mul_f64 v[115:116], v[64:65], v[89:90]
	s_waitcnt vmcnt(3)
	v_mul_f64 v[117:118], v[87:88], v[93:94]
	s_waitcnt lgkmcnt(3)
	v_mul_f64 v[62:63], v[22:23], v[62:63]
	v_mul_f64 v[64:65], v[64:65], v[91:92]
	;; [unrolled: 1-line block ×3, first 2 shown]
	s_waitcnt vmcnt(2)
	v_mul_f64 v[119:120], v[56:57], v[99:100]
	s_waitcnt vmcnt(1)
	v_mul_f64 v[121:122], v[70:71], v[101:102]
	;; [unrolled: 2-line block ×3, first 2 shown]
	v_mul_f64 v[99:100], v[20:21], v[99:100]
	v_mul_f64 v[70:71], v[70:71], v[103:104]
	;; [unrolled: 1-line block ×3, first 2 shown]
	v_fma_f64 v[46:47], v[12:13], v[46:47], v[111:112]
	v_fma_f64 v[18:19], v[18:19], v[48:49], -v[79:80]
	v_fma_f64 v[54:55], v[8:9], v[54:55], v[109:110]
	v_fma_f64 v[48:49], v[66:67], v[48:49], v[50:51]
	v_fma_f64 v[50:51], v[8:9], v[52:53], -v[68:69]
	v_fma_f64 v[12:13], v[12:13], v[44:45], -v[72:73]
	;; [unrolled: 1-line block ×3, first 2 shown]
	v_fma_f64 v[44:45], v[16:17], v[91:92], v[115:116]
	s_waitcnt lgkmcnt(0)
	v_fma_f64 v[52:53], v[32:33], v[95:96], v[117:118]
	v_fma_f64 v[58:59], v[58:59], v[60:61], v[62:63]
	v_fma_f64 v[16:17], v[16:17], v[89:90], -v[64:65]
	v_fma_f64 v[32:33], v[32:33], v[93:94], -v[87:88]
	;; [unrolled: 1-line block ×3, first 2 shown]
	v_fma_f64 v[60:61], v[10:11], v[103:104], v[121:122]
	v_fma_f64 v[62:63], v[14:15], v[107:108], v[123:124]
	;; [unrolled: 1-line block ×3, first 2 shown]
	v_fma_f64 v[10:11], v[10:11], v[101:102], -v[70:71]
	v_fma_f64 v[14:15], v[14:15], v[105:106], -v[74:75]
	v_add_co_u32 v8, s1, v130, v77
	v_lshlrev_b32_e32 v72, 4, v132
	v_mad_u64_u32 v[64:65], null, v128, 52, v[125:126]
	v_add_f64 v[68:69], v[28:29], -v[18:19]
	v_add_f64 v[18:19], v[54:55], -v[46:47]
	v_add_f64 v[48:49], v[85:86], -v[48:49]
	v_add_co_ci_u32_e64 v9, s1, v131, v78, s1
	v_add_f64 v[46:47], v[50:51], -v[12:13]
	v_add_f64 v[22:23], v[30:31], -v[22:23]
	;; [unrolled: 1-line block ×4, first 2 shown]
	v_lshlrev_b64 v[66:67], 4, v[126:127]
	v_add_f64 v[32:33], v[16:17], -v[32:33]
	v_add_f64 v[70:71], v[26:27], -v[20:21]
	v_mov_b32_e32 v65, v25
	v_add_f64 v[20:21], v[60:61], -v[62:63]
	v_add_f64 v[56:57], v[81:82], -v[56:57]
	v_add_co_u32 v72, s1, v8, v72
	v_add_f64 v[62:63], v[10:11], -v[14:15]
	v_add_co_ci_u32_e64 v73, s1, 0, v9, s1
	v_lshlrev_b64 v[12:13], 4, v[64:65]
	v_add_co_u32 v74, s1, v8, v66
	v_fma_f64 v[65:66], v[28:29], 2.0, -v[68:69]
	v_fma_f64 v[77:78], v[85:86], 2.0, -v[48:49]
	v_lshlrev_b64 v[14:15], 4, v[24:25]
	v_add_co_ci_u32_e64 v75, s1, v9, v67, s1
	v_fma_f64 v[28:29], v[50:51], 2.0, -v[46:47]
	v_fma_f64 v[50:51], v[54:55], 2.0, -v[18:19]
	;; [unrolled: 1-line block ×9, first 2 shown]
	v_add_co_u32 v87, s1, v8, v12
	v_fma_f64 v[54:55], v[10:11], 2.0, -v[62:63]
	v_add_co_ci_u32_e64 v88, s1, v9, v13, s1
	v_add_f64 v[12:13], v[68:69], -v[18:19]
	v_add_f64 v[10:11], v[48:49], v[46:47]
	v_add_co_u32 v91, s1, v8, v14
	v_add_co_ci_u32_e64 v92, s1, v9, v15, s1
	v_add_f64 v[14:15], v[58:59], v[32:33]
	v_add_f64 v[20:21], v[70:71], -v[20:21]
	v_add_f64 v[28:29], v[65:66], -v[28:29]
	;; [unrolled: 1-line block ×3, first 2 shown]
	v_add_f64 v[18:19], v[56:57], v[62:63]
	v_add_f64 v[16:17], v[22:23], -v[52:53]
	v_add_f64 v[32:33], v[79:80], -v[30:31]
	;; [unrolled: 1-line block ×3, first 2 shown]
	v_add_nc_u32_e32 v24, 26, v126
	v_add_f64 v[44:45], v[81:82], -v[60:61]
	v_add_f64 v[46:47], v[85:86], -v[54:55]
	v_lshlrev_b64 v[89:90], 4, v[24:25]
	v_add_nc_u32_e32 v24, 39, v126
	v_fma_f64 v[50:51], v[68:69], 2.0, -v[12:13]
	v_fma_f64 v[48:49], v[48:49], 2.0, -v[10:11]
	v_lshlrev_b64 v[93:94], 4, v[24:25]
	v_add_nc_u32_e32 v24, 13, v64
	v_fma_f64 v[52:53], v[58:59], 2.0, -v[14:15]
	v_fma_f64 v[58:59], v[70:71], 2.0, -v[20:21]
	v_fma_f64 v[62:63], v[65:66], 2.0, -v[28:29]
	v_fma_f64 v[60:61], v[77:78], 2.0, -v[26:27]
	v_lshlrev_b64 v[95:96], 4, v[24:25]
	v_add_nc_u32_e32 v24, 26, v64
	v_fma_f64 v[56:57], v[56:57], 2.0, -v[18:19]
	v_add_co_u32 v89, s1, v8, v89
	v_fma_f64 v[66:67], v[79:80], 2.0, -v[32:33]
	v_fma_f64 v[68:69], v[81:82], 2.0, -v[44:45]
	v_lshlrev_b64 v[97:98], 4, v[24:25]
	v_add_nc_u32_e32 v24, 39, v64
	v_fma_f64 v[70:71], v[85:86], 2.0, -v[46:47]
	v_fma_f64 v[64:65], v[83:84], 2.0, -v[30:31]
	;; [unrolled: 1-line block ×3, first 2 shown]
	v_add_co_ci_u32_e64 v90, s1, v9, v90, s1
	v_add_co_u32 v93, s1, v8, v93
	v_add_co_ci_u32_e64 v94, s1, v9, v94, s1
	v_add_co_u32 v22, s1, v8, v95
	v_lshlrev_b64 v[77:78], 4, v[24:25]
	v_add_co_ci_u32_e64 v23, s1, v9, v96, s1
	v_add_co_u32 v79, s1, v8, v97
	v_add_co_ci_u32_e64 v80, s1, v9, v98, s1
	v_add_co_u32 v77, s1, v8, v77
	v_add_co_ci_u32_e64 v78, s1, v9, v78, s1
	global_store_dwordx4 v[72:73], v[10:13], off offset:624
	global_store_dwordx4 v[72:73], v[48:51], off offset:208
	;; [unrolled: 1-line block ×3, first 2 shown]
	global_store_dwordx4 v[72:73], v[60:63], off
	global_store_dwordx4 v[91:92], v[56:59], off
	global_store_dwordx4 v[89:90], v[44:47], off
	global_store_dwordx4 v[93:94], v[18:21], off
	global_store_dwordx4 v[74:75], v[68:71], off
	global_store_dwordx4 v[87:88], v[64:67], off
	global_store_dwordx4 v[22:23], v[52:55], off
	global_store_dwordx4 v[79:80], v[30:33], off
	global_store_dwordx4 v[77:78], v[14:17], off
	s_and_b32 exec_lo, exec_lo, vcc_lo
	s_cbranch_execz .LBB0_20
; %bb.19:
	v_add_nc_u32_e32 v10, -3, v35
	v_mov_b32_e32 v35, v25
	v_mov_b32_e32 v77, v25
	v_cndmask_b32_e64 v24, v10, 36, s0
	v_lshlrev_b64 v[10:11], 4, v[24:25]
	v_add_co_u32 v18, vcc_lo, s8, v10
	v_add_co_ci_u32_e32 v19, vcc_lo, s9, v11, vcc_lo
	s_clause 0x2
	global_load_dwordx4 v[10:13], v[18:19], off
	global_load_dwordx4 v[14:17], v[18:19], off offset:16
	global_load_dwordx4 v[18:21], v[18:19], off offset:32
	s_waitcnt vmcnt(2)
	v_mul_f64 v[22:23], v[2:3], v[12:13]
	v_mul_f64 v[12:13], v[38:39], v[12:13]
	s_waitcnt vmcnt(1)
	v_mul_f64 v[26:27], v[4:5], v[16:17]
	v_mul_f64 v[16:17], v[40:41], v[16:17]
	s_waitcnt vmcnt(0)
	v_mul_f64 v[28:29], v[6:7], v[20:21]
	v_mul_f64 v[20:21], v[42:43], v[20:21]
	v_fma_f64 v[22:23], v[38:39], v[10:11], v[22:23]
	v_fma_f64 v[2:3], v[2:3], v[10:11], -v[12:13]
	v_fma_f64 v[10:11], v[40:41], v[14:15], v[26:27]
	v_fma_f64 v[4:5], v[4:5], v[14:15], -v[16:17]
	;; [unrolled: 2-line block ×3, first 2 shown]
	v_add_f64 v[10:11], v[36:37], -v[10:11]
	v_add_f64 v[14:15], v[0:1], -v[4:5]
	;; [unrolled: 1-line block ×4, first 2 shown]
	v_fma_f64 v[16:17], v[36:37], 2.0, -v[10:11]
	v_fma_f64 v[18:19], v[0:1], 2.0, -v[14:15]
	;; [unrolled: 1-line block ×4, first 2 shown]
	v_add_f64 v[0:1], v[10:11], v[6:7]
	v_add_f64 v[2:3], v[14:15], -v[4:5]
	v_add_f64 v[4:5], v[16:17], -v[12:13]
	;; [unrolled: 1-line block ×3, first 2 shown]
	v_fma_f64 v[10:11], v[10:11], 2.0, -v[0:1]
	v_fma_f64 v[12:13], v[14:15], 2.0, -v[2:3]
	v_lshlrev_b64 v[20:21], 4, v[76:77]
	v_fma_f64 v[14:15], v[16:17], 2.0, -v[4:5]
	v_fma_f64 v[16:17], v[18:19], 2.0, -v[6:7]
	v_lshlrev_b64 v[18:19], 4, v[34:35]
	v_add_co_u32 v18, vcc_lo, v8, v18
	v_add_co_ci_u32_e32 v19, vcc_lo, v9, v19, vcc_lo
	v_add_co_u32 v8, vcc_lo, v8, v20
	v_add_co_ci_u32_e32 v9, vcc_lo, v9, v21, vcc_lo
	global_store_dwordx4 v[18:19], v[14:17], off
	global_store_dwordx4 v[8:9], v[10:13], off offset:400
	global_store_dwordx4 v[8:9], v[4:7], off offset:608
	global_store_dwordx4 v[8:9], v[0:3], off offset:816
.LBB0_20:
	s_endpgm
	.section	.rodata,"a",@progbits
	.p2align	6, 0x0
	.amdhsa_kernel fft_rtc_back_len52_factors_13_4_wgs_64_tpt_4_halfLds_dp_op_CI_CI_unitstride_sbrr_dirReg
		.amdhsa_group_segment_fixed_size 0
		.amdhsa_private_segment_fixed_size 0
		.amdhsa_kernarg_size 104
		.amdhsa_user_sgpr_count 6
		.amdhsa_user_sgpr_private_segment_buffer 1
		.amdhsa_user_sgpr_dispatch_ptr 0
		.amdhsa_user_sgpr_queue_ptr 0
		.amdhsa_user_sgpr_kernarg_segment_ptr 1
		.amdhsa_user_sgpr_dispatch_id 0
		.amdhsa_user_sgpr_flat_scratch_init 0
		.amdhsa_user_sgpr_private_segment_size 0
		.amdhsa_wavefront_size32 1
		.amdhsa_uses_dynamic_stack 0
		.amdhsa_system_sgpr_private_segment_wavefront_offset 0
		.amdhsa_system_sgpr_workgroup_id_x 1
		.amdhsa_system_sgpr_workgroup_id_y 0
		.amdhsa_system_sgpr_workgroup_id_z 0
		.amdhsa_system_sgpr_workgroup_info 0
		.amdhsa_system_vgpr_workitem_id 0
		.amdhsa_next_free_vgpr 181
		.amdhsa_next_free_sgpr 46
		.amdhsa_reserve_vcc 1
		.amdhsa_reserve_flat_scratch 0
		.amdhsa_float_round_mode_32 0
		.amdhsa_float_round_mode_16_64 0
		.amdhsa_float_denorm_mode_32 3
		.amdhsa_float_denorm_mode_16_64 3
		.amdhsa_dx10_clamp 1
		.amdhsa_ieee_mode 1
		.amdhsa_fp16_overflow 0
		.amdhsa_workgroup_processor_mode 1
		.amdhsa_memory_ordered 1
		.amdhsa_forward_progress 0
		.amdhsa_shared_vgpr_count 0
		.amdhsa_exception_fp_ieee_invalid_op 0
		.amdhsa_exception_fp_denorm_src 0
		.amdhsa_exception_fp_ieee_div_zero 0
		.amdhsa_exception_fp_ieee_overflow 0
		.amdhsa_exception_fp_ieee_underflow 0
		.amdhsa_exception_fp_ieee_inexact 0
		.amdhsa_exception_int_div_zero 0
	.end_amdhsa_kernel
	.text
.Lfunc_end0:
	.size	fft_rtc_back_len52_factors_13_4_wgs_64_tpt_4_halfLds_dp_op_CI_CI_unitstride_sbrr_dirReg, .Lfunc_end0-fft_rtc_back_len52_factors_13_4_wgs_64_tpt_4_halfLds_dp_op_CI_CI_unitstride_sbrr_dirReg
                                        ; -- End function
	.section	.AMDGPU.csdata,"",@progbits
; Kernel info:
; codeLenInByte = 7168
; NumSgprs: 48
; NumVgprs: 181
; ScratchSize: 0
; MemoryBound: 1
; FloatMode: 240
; IeeeMode: 1
; LDSByteSize: 0 bytes/workgroup (compile time only)
; SGPRBlocks: 5
; VGPRBlocks: 22
; NumSGPRsForWavesPerEU: 48
; NumVGPRsForWavesPerEU: 181
; Occupancy: 5
; WaveLimiterHint : 1
; COMPUTE_PGM_RSRC2:SCRATCH_EN: 0
; COMPUTE_PGM_RSRC2:USER_SGPR: 6
; COMPUTE_PGM_RSRC2:TRAP_HANDLER: 0
; COMPUTE_PGM_RSRC2:TGID_X_EN: 1
; COMPUTE_PGM_RSRC2:TGID_Y_EN: 0
; COMPUTE_PGM_RSRC2:TGID_Z_EN: 0
; COMPUTE_PGM_RSRC2:TIDIG_COMP_CNT: 0
	.text
	.p2alignl 6, 3214868480
	.fill 48, 4, 3214868480
	.type	__hip_cuid_c8896c79833d1b8e,@object ; @__hip_cuid_c8896c79833d1b8e
	.section	.bss,"aw",@nobits
	.globl	__hip_cuid_c8896c79833d1b8e
__hip_cuid_c8896c79833d1b8e:
	.byte	0                               ; 0x0
	.size	__hip_cuid_c8896c79833d1b8e, 1

	.ident	"AMD clang version 19.0.0git (https://github.com/RadeonOpenCompute/llvm-project roc-6.4.0 25133 c7fe45cf4b819c5991fe208aaa96edf142730f1d)"
	.section	".note.GNU-stack","",@progbits
	.addrsig
	.addrsig_sym __hip_cuid_c8896c79833d1b8e
	.amdgpu_metadata
---
amdhsa.kernels:
  - .args:
      - .actual_access:  read_only
        .address_space:  global
        .offset:         0
        .size:           8
        .value_kind:     global_buffer
      - .offset:         8
        .size:           8
        .value_kind:     by_value
      - .actual_access:  read_only
        .address_space:  global
        .offset:         16
        .size:           8
        .value_kind:     global_buffer
      - .actual_access:  read_only
        .address_space:  global
        .offset:         24
        .size:           8
        .value_kind:     global_buffer
      - .actual_access:  read_only
        .address_space:  global
        .offset:         32
        .size:           8
        .value_kind:     global_buffer
      - .offset:         40
        .size:           8
        .value_kind:     by_value
      - .actual_access:  read_only
        .address_space:  global
        .offset:         48
        .size:           8
        .value_kind:     global_buffer
      - .actual_access:  read_only
        .address_space:  global
        .offset:         56
        .size:           8
        .value_kind:     global_buffer
      - .offset:         64
        .size:           4
        .value_kind:     by_value
      - .actual_access:  read_only
        .address_space:  global
        .offset:         72
        .size:           8
        .value_kind:     global_buffer
      - .actual_access:  read_only
        .address_space:  global
        .offset:         80
        .size:           8
        .value_kind:     global_buffer
      - .actual_access:  read_only
        .address_space:  global
        .offset:         88
        .size:           8
        .value_kind:     global_buffer
      - .actual_access:  write_only
        .address_space:  global
        .offset:         96
        .size:           8
        .value_kind:     global_buffer
    .group_segment_fixed_size: 0
    .kernarg_segment_align: 8
    .kernarg_segment_size: 104
    .language:       OpenCL C
    .language_version:
      - 2
      - 0
    .max_flat_workgroup_size: 64
    .name:           fft_rtc_back_len52_factors_13_4_wgs_64_tpt_4_halfLds_dp_op_CI_CI_unitstride_sbrr_dirReg
    .private_segment_fixed_size: 0
    .sgpr_count:     48
    .sgpr_spill_count: 0
    .symbol:         fft_rtc_back_len52_factors_13_4_wgs_64_tpt_4_halfLds_dp_op_CI_CI_unitstride_sbrr_dirReg.kd
    .uniform_work_group_size: 1
    .uses_dynamic_stack: false
    .vgpr_count:     181
    .vgpr_spill_count: 0
    .wavefront_size: 32
    .workgroup_processor_mode: 1
amdhsa.target:   amdgcn-amd-amdhsa--gfx1030
amdhsa.version:
  - 1
  - 2
...

	.end_amdgpu_metadata
